;; amdgpu-corpus repo=zjin-lcf/HeCBench kind=compiled arch=gfx906 opt=O3
	.amdgcn_target "amdgcn-amd-amdhsa--gfx906"
	.amdhsa_code_object_version 6
	.text
	.protected	_Z14zoom_in_kernelPKfPfiiiimiiii ; -- Begin function _Z14zoom_in_kernelPKfPfiiiimiiii
	.globl	_Z14zoom_in_kernelPKfPfiiiimiiii
	.p2align	8
	.type	_Z14zoom_in_kernelPKfPfiiiimiiii,@function
_Z14zoom_in_kernelPKfPfiiiimiiii:       ; @_Z14zoom_in_kernelPKfPfiiiimiiii
; %bb.0:
	s_load_dwordx8 s[12:19], s[4:5], 0x0
	s_load_dword s2, s[4:5], 0x44
	s_waitcnt lgkmcnt(0)
	v_cvt_f32_i32_e32 v2, s16
	v_cvt_f32_i32_e32 v3, s18
	;; [unrolled: 1-line block ×4, first 2 shown]
	v_div_scale_f32 v6, s[0:1], v3, v3, v2
	v_div_scale_f32 v7, s[0:1], v5, v5, v4
	v_div_scale_f32 v8, vcc, v2, v3, v2
	v_div_scale_f32 v9, s[0:1], v4, v5, v4
	v_rcp_f32_e32 v10, v6
	v_rcp_f32_e32 v11, v7
	v_fma_f32 v12, -v6, v10, 1.0
	v_fmac_f32_e32 v10, v12, v10
	v_mul_f32_e32 v12, v8, v10
	v_fma_f32 v13, -v7, v11, 1.0
	v_fma_f32 v14, -v6, v12, v8
	v_fmac_f32_e32 v11, v13, v11
	v_fmac_f32_e32 v12, v14, v10
	v_mul_f32_e32 v13, v9, v11
	v_fma_f32 v6, -v6, v12, v8
	v_fma_f32 v15, -v7, v13, v9
	v_div_fmas_f32 v6, v6, v10, v12
	v_fmac_f32_e32 v13, v15, v11
	v_fma_f32 v7, -v7, v13, v9
	s_mov_b64 vcc, s[0:1]
	v_div_fmas_f32 v7, v7, v11, v13
	s_load_dwordx2 s[0:1], s[4:5], 0x20
	s_lshr_b32 s28, s2, 16
	s_mul_i32 s26, s7, s28
	v_cvt_f32_i32_e32 v9, s26
	s_and_b32 s29, s2, 0xffff
	s_waitcnt lgkmcnt(0)
	s_mul_i32 s1, s1, s8
	s_mul_hi_u32 s2, s0, s8
	s_mul_i32 s27, s6, s29
	s_add_i32 s7, s2, s1
	s_add_i32 s1, s26, s28
	;; [unrolled: 1-line block ×3, first 2 shown]
	v_div_fixup_f32 v8, v6, v3, v2
	v_mul_f32_e32 v2, v8, v9
	v_cvt_f32_i32_e32 v10, s1
	v_floor_f32_e32 v2, v2
	v_div_fixup_f32 v6, v7, v5, v4
	v_cvt_i32_f32_e32 v4, v2
	v_cvt_f32_i32_e32 v2, s27
	v_cvt_f32_i32_e32 v5, s2
	v_mul_f32_e32 v3, v8, v10
	v_ceil_f32_e32 v3, v3
	v_mul_f32_e32 v2, v6, v2
	v_mul_f32_e32 v5, v6, v5
	v_cvt_i32_f32_e32 v3, v3
	v_floor_f32_e32 v2, v2
	v_ceil_f32_e32 v5, v5
	v_cvt_i32_f32_e32 v2, v2
	v_cvt_i32_f32_e32 v5, v5
	v_sub_u32_e32 v9, v3, v4
	s_mul_i32 s6, s0, s8
	v_readfirstlane_b32 s20, v2
	v_sub_u32_e32 v7, v5, v2
	v_cmp_lt_i32_e32 vcc, v1, v9
	s_and_saveexec_b64 s[8:9], vcc
	s_cbranch_execz .LBB0_8
; %bb.1:
	v_mul_lo_u32 v2, v1, v7
	s_ashr_i32 s21, s20, 31
	s_lshl_b64 s[0:1], s[6:7], 2
	v_mul_lo_u32 v3, v7, s28
	s_add_u32 s2, s12, s0
	s_addc_u32 s3, s13, s1
	s_lshl_b64 s[0:1], s[20:21], 2
	s_add_u32 s21, s2, s0
	v_lshlrev_b32_e32 v2, 2, v2
	v_lshlrev_b32_e32 v10, 2, v0
	v_cmp_lt_i32_e32 vcc, v0, v7
	s_addc_u32 s30, s3, s1
	v_add3_u32 v10, v2, v10, 0
	v_lshlrev_b32_e32 v11, 2, v3
	s_lshl_b32 s31, s29, 2
	s_mov_b64 s[10:11], 0
	v_mov_b32_e32 v12, v1
	s_branch .LBB0_3
.LBB0_2:                                ;   in Loop: Header=BB0_3 Depth=1
	s_or_b64 exec, exec, s[12:13]
	v_add_u32_e32 v12, s28, v12
	v_cmp_ge_i32_e64 s[0:1], v12, v9
	s_or_b64 s[10:11], s[0:1], s[10:11]
	v_add_u32_e32 v10, v10, v11
	s_andn2_b64 exec, exec, s[10:11]
	s_cbranch_execz .LBB0_8
.LBB0_3:                                ; =>This Loop Header: Depth=1
                                        ;     Child Loop BB0_6 Depth 2
	s_and_saveexec_b64 s[12:13], vcc
	s_cbranch_execz .LBB0_2
; %bb.4:                                ;   in Loop: Header=BB0_3 Depth=1
	v_add_u32_e32 v3, v12, v4
	v_mul_lo_u32 v2, v3, s17
	v_cmp_gt_i32_e64 s[0:1], s16, v3
	v_mov_b32_e32 v14, s30
	s_mov_b64 s[22:23], 0
	v_ashrrev_i32_e32 v3, 31, v2
	v_lshlrev_b64 v[2:3], 2, v[2:3]
	v_mov_b32_e32 v15, v10
	v_add_co_u32_e64 v13, s[2:3], s21, v2
	v_addc_co_u32_e64 v14, s[2:3], v14, v3, s[2:3]
	v_mov_b32_e32 v2, v0
	s_branch .LBB0_6
.LBB0_5:                                ;   in Loop: Header=BB0_6 Depth=2
	s_or_b64 exec, exec, s[24:25]
	v_add_u32_e32 v2, s29, v2
	v_cmp_ge_i32_e64 s[2:3], v2, v7
	s_waitcnt vmcnt(0)
	ds_write_b32 v15, v3
	s_or_b64 s[22:23], s[2:3], s[22:23]
	v_add_u32_e32 v15, s31, v15
	s_andn2_b64 exec, exec, s[22:23]
	s_cbranch_execz .LBB0_2
.LBB0_6:                                ;   Parent Loop BB0_3 Depth=1
                                        ; =>  This Inner Loop Header: Depth=2
	v_add_u32_e32 v3, s20, v2
	v_cmp_gt_i32_e64 s[2:3], s17, v3
	s_and_b64 s[2:3], s[0:1], s[2:3]
	v_mov_b32_e32 v3, 0
	s_and_saveexec_b64 s[24:25], s[2:3]
	s_cbranch_execz .LBB0_5
; %bb.7:                                ;   in Loop: Header=BB0_6 Depth=2
	v_ashrrev_i32_e32 v3, 31, v2
	v_lshlrev_b64 v[16:17], 2, v[2:3]
	v_add_co_u32_e64 v16, s[2:3], v13, v16
	v_addc_co_u32_e64 v17, s[2:3], v14, v17, s[2:3]
	global_load_dword v3, v[16:17], off
	s_branch .LBB0_5
.LBB0_8:
	s_or_b64 exec, exec, s[8:9]
	s_load_dwordx4 s[8:11], s[4:5], 0x28
	v_add_u32_e32 v1, s26, v1
	v_add_u32_e32 v0, s27, v0
	v_cmp_gt_i32_e32 vcc, s18, v1
	v_cmp_gt_i32_e64 s[0:1], s19, v0
	s_and_b64 s[0:1], vcc, s[0:1]
	s_waitcnt lgkmcnt(0)
	v_cmp_le_i32_e32 vcc, s8, v1
	s_and_b64 s[0:1], vcc, s[0:1]
	v_cmp_gt_i32_e32 vcc, s9, v1
	s_and_b64 s[0:1], vcc, s[0:1]
	v_cmp_le_i32_e32 vcc, s10, v0
	s_and_b64 s[0:1], vcc, s[0:1]
	v_cmp_gt_i32_e32 vcc, s11, v0
	s_and_b64 s[0:1], vcc, s[0:1]
	s_barrier
	s_and_saveexec_b64 s[2:3], s[0:1]
	s_cbranch_execz .LBB0_18
; %bb.9:
	v_cvt_f32_i32_e32 v2, v1
	v_add_u32_e32 v3, 1, v1
	v_cvt_f32_i32_e32 v3, v3
	v_add_u32_e32 v9, 1, v0
	v_mul_f32_e32 v2, v8, v2
	v_floor_f32_e32 v2, v2
	v_mul_f32_e32 v3, v8, v3
	v_cvt_i32_f32_e32 v8, v2
	v_ceil_f32_e32 v2, v3
	v_cvt_f32_i32_e32 v3, v0
	v_cvt_f32_i32_e32 v10, v9
	v_cvt_i32_f32_e32 v2, v2
	s_mov_b32 s9, 0
	v_mul_f32_e32 v3, v6, v3
	v_floor_f32_e32 v3, v3
	v_cvt_i32_f32_e32 v9, v3
	v_mul_f32_e32 v3, v6, v10
	v_ceil_f32_e32 v3, v3
	v_cvt_i32_f32_e32 v6, v3
	v_sub_u32_e32 v3, v2, v8
	v_cmp_lt_i32_e32 vcc, 0, v3
	v_mov_b32_e32 v2, 0
	v_sub_u32_e32 v6, v6, v9
	s_and_saveexec_b64 s[2:3], vcc
	s_cbranch_execz .LBB0_17
; %bb.10:
	v_sub_u32_e32 v2, v8, v4
	v_mul_lo_u32 v2, v2, v7
	v_lshlrev_b32_e32 v4, 2, v9
	s_lshl_b32 s0, s20, 2
	v_cmp_lt_i32_e32 vcc, 0, v6
	v_lshl_add_u32 v2, v2, 2, v4
	v_subrev_u32_e32 v2, s0, v2
	v_add_u32_e32 v4, 0, v2
	v_lshlrev_b32_e32 v2, 2, v5
	v_subrev_u32_e32 v5, s0, v2
	v_mov_b32_e32 v2, 0
	s_mov_b64 s[4:5], 0
	s_branch .LBB0_12
.LBB0_11:                               ;   in Loop: Header=BB0_12 Depth=1
	s_or_b64 exec, exec, s[12:13]
	s_add_i32 s9, s9, 1
	v_cmp_ge_i32_e64 s[0:1], s9, v3
	s_or_b64 s[4:5], s[0:1], s[4:5]
	v_add_u32_e32 v4, v4, v5
	s_andn2_b64 exec, exec, s[4:5]
	s_cbranch_execz .LBB0_16
.LBB0_12:                               ; =>This Loop Header: Depth=1
                                        ;     Child Loop BB0_14 Depth 2
	s_and_saveexec_b64 s[12:13], vcc
	s_cbranch_execz .LBB0_11
; %bb.13:                               ;   in Loop: Header=BB0_12 Depth=1
	s_mov_b32 s11, 0
	s_mov_b64 s[18:19], 0
	v_mov_b32_e32 v7, v4
.LBB0_14:                               ;   Parent Loop BB0_12 Depth=1
                                        ; =>  This Inner Loop Header: Depth=2
	ds_read_b32 v8, v7
	s_add_i32 s11, s11, 1
	v_cmp_ge_i32_e64 s[0:1], s11, v6
	v_add_u32_e32 v7, 4, v7
	s_or_b64 s[18:19], s[0:1], s[18:19]
	s_waitcnt lgkmcnt(0)
	v_add_f32_e32 v2, v2, v8
	s_andn2_b64 exec, exec, s[18:19]
	s_cbranch_execnz .LBB0_14
; %bb.15:                               ;   in Loop: Header=BB0_12 Depth=1
	s_or_b64 exec, exec, s[18:19]
	s_branch .LBB0_11
.LBB0_16:
	s_or_b64 exec, exec, s[4:5]
.LBB0_17:
	s_or_b64 exec, exec, s[2:3]
	v_mul_lo_u32 v3, v6, v3
	v_subrev_u32_e32 v1, s8, v1
	v_subrev_u32_e32 v0, s10, v0
	v_cvt_f32_i32_e32 v5, v3
	v_div_scale_f32 v3, s[0:1], v5, v5, v2
	v_div_scale_f32 v4, vcc, v2, v5, v2
	s_lshl_b64 s[0:1], s[6:7], 2
	s_add_u32 s0, s14, s0
	s_addc_u32 s1, s15, s1
	v_rcp_f32_e32 v6, v3
	v_fma_f32 v7, -v3, v6, 1.0
	v_fmac_f32_e32 v6, v7, v6
	v_mul_f32_e32 v7, v4, v6
	v_fma_f32 v8, -v3, v7, v4
	v_fmac_f32_e32 v7, v8, v6
	v_fma_f32 v3, -v3, v7, v4
	v_div_fmas_f32 v6, v3, v6, v7
	v_mul_lo_u32 v3, v1, s17
	v_ashrrev_i32_e32 v1, 31, v0
	v_lshlrev_b64 v[0:1], 2, v[0:1]
	v_mov_b32_e32 v7, s1
	v_ashrrev_i32_e32 v4, 31, v3
	v_lshlrev_b64 v[3:4], 2, v[3:4]
	v_add_co_u32_e32 v3, vcc, s0, v3
	v_addc_co_u32_e32 v4, vcc, v7, v4, vcc
	v_add_co_u32_e32 v0, vcc, v3, v0
	v_addc_co_u32_e32 v1, vcc, v4, v1, vcc
	v_div_fixup_f32 v2, v6, v5, v2
	global_store_dword v[0:1], v2, off
.LBB0_18:
	s_endpgm
	.section	.rodata,"a",@progbits
	.p2align	6, 0x0
	.amdhsa_kernel _Z14zoom_in_kernelPKfPfiiiimiiii
		.amdhsa_group_segment_fixed_size 0
		.amdhsa_private_segment_fixed_size 0
		.amdhsa_kernarg_size 312
		.amdhsa_user_sgpr_count 6
		.amdhsa_user_sgpr_private_segment_buffer 1
		.amdhsa_user_sgpr_dispatch_ptr 0
		.amdhsa_user_sgpr_queue_ptr 0
		.amdhsa_user_sgpr_kernarg_segment_ptr 1
		.amdhsa_user_sgpr_dispatch_id 0
		.amdhsa_user_sgpr_flat_scratch_init 0
		.amdhsa_user_sgpr_private_segment_size 0
		.amdhsa_uses_dynamic_stack 0
		.amdhsa_system_sgpr_private_segment_wavefront_offset 0
		.amdhsa_system_sgpr_workgroup_id_x 1
		.amdhsa_system_sgpr_workgroup_id_y 1
		.amdhsa_system_sgpr_workgroup_id_z 1
		.amdhsa_system_sgpr_workgroup_info 0
		.amdhsa_system_vgpr_workitem_id 1
		.amdhsa_next_free_vgpr 18
		.amdhsa_next_free_sgpr 32
		.amdhsa_reserve_vcc 1
		.amdhsa_reserve_flat_scratch 0
		.amdhsa_float_round_mode_32 0
		.amdhsa_float_round_mode_16_64 0
		.amdhsa_float_denorm_mode_32 3
		.amdhsa_float_denorm_mode_16_64 3
		.amdhsa_dx10_clamp 1
		.amdhsa_ieee_mode 1
		.amdhsa_fp16_overflow 0
		.amdhsa_exception_fp_ieee_invalid_op 0
		.amdhsa_exception_fp_denorm_src 0
		.amdhsa_exception_fp_ieee_div_zero 0
		.amdhsa_exception_fp_ieee_overflow 0
		.amdhsa_exception_fp_ieee_underflow 0
		.amdhsa_exception_fp_ieee_inexact 0
		.amdhsa_exception_int_div_zero 0
	.end_amdhsa_kernel
	.text
.Lfunc_end0:
	.size	_Z14zoom_in_kernelPKfPfiiiimiiii, .Lfunc_end0-_Z14zoom_in_kernelPKfPfiiiimiiii
                                        ; -- End function
	.set _Z14zoom_in_kernelPKfPfiiiimiiii.num_vgpr, 18
	.set _Z14zoom_in_kernelPKfPfiiiimiiii.num_agpr, 0
	.set _Z14zoom_in_kernelPKfPfiiiimiiii.numbered_sgpr, 32
	.set _Z14zoom_in_kernelPKfPfiiiimiiii.num_named_barrier, 0
	.set _Z14zoom_in_kernelPKfPfiiiimiiii.private_seg_size, 0
	.set _Z14zoom_in_kernelPKfPfiiiimiiii.uses_vcc, 1
	.set _Z14zoom_in_kernelPKfPfiiiimiiii.uses_flat_scratch, 0
	.set _Z14zoom_in_kernelPKfPfiiiimiiii.has_dyn_sized_stack, 0
	.set _Z14zoom_in_kernelPKfPfiiiimiiii.has_recursion, 0
	.set _Z14zoom_in_kernelPKfPfiiiimiiii.has_indirect_call, 0
	.section	.AMDGPU.csdata,"",@progbits
; Kernel info:
; codeLenInByte = 1156
; TotalNumSgprs: 36
; NumVgprs: 18
; ScratchSize: 0
; MemoryBound: 0
; FloatMode: 240
; IeeeMode: 1
; LDSByteSize: 0 bytes/workgroup (compile time only)
; SGPRBlocks: 4
; VGPRBlocks: 4
; NumSGPRsForWavesPerEU: 36
; NumVGPRsForWavesPerEU: 18
; Occupancy: 10
; WaveLimiterHint : 0
; COMPUTE_PGM_RSRC2:SCRATCH_EN: 0
; COMPUTE_PGM_RSRC2:USER_SGPR: 6
; COMPUTE_PGM_RSRC2:TRAP_HANDLER: 0
; COMPUTE_PGM_RSRC2:TGID_X_EN: 1
; COMPUTE_PGM_RSRC2:TGID_Y_EN: 1
; COMPUTE_PGM_RSRC2:TGID_Z_EN: 1
; COMPUTE_PGM_RSRC2:TIDIG_COMP_CNT: 1
	.text
	.protected	_Z15zoom_out_kernelPKfPfiiiimiiii ; -- Begin function _Z15zoom_out_kernelPKfPfiiiimiiii
	.globl	_Z15zoom_out_kernelPKfPfiiiimiiii
	.p2align	8
	.type	_Z15zoom_out_kernelPKfPfiiiimiiii,@function
_Z15zoom_out_kernelPKfPfiiiimiiii:      ; @_Z15zoom_out_kernelPKfPfiiiimiiii
; %bb.0:
	s_load_dwordx8 s[12:19], s[4:5], 0x0
	s_load_dword s2, s[4:5], 0x44
	s_waitcnt lgkmcnt(0)
	v_cvt_f32_i32_e32 v2, s16
	v_cvt_f32_i32_e32 v3, s18
	;; [unrolled: 1-line block ×4, first 2 shown]
	v_div_scale_f32 v6, s[0:1], v3, v3, v2
	v_div_scale_f32 v7, s[0:1], v5, v5, v4
	v_div_scale_f32 v8, vcc, v2, v3, v2
	v_div_scale_f32 v9, s[0:1], v4, v5, v4
	v_rcp_f32_e32 v10, v6
	v_rcp_f32_e32 v11, v7
	v_fma_f32 v12, -v6, v10, 1.0
	v_fmac_f32_e32 v10, v12, v10
	v_mul_f32_e32 v12, v8, v10
	v_fma_f32 v13, -v7, v11, 1.0
	v_fma_f32 v14, -v6, v12, v8
	v_fmac_f32_e32 v11, v13, v11
	v_fmac_f32_e32 v12, v14, v10
	v_mul_f32_e32 v13, v9, v11
	v_fma_f32 v6, -v6, v12, v8
	v_fma_f32 v15, -v7, v13, v9
	v_div_fmas_f32 v6, v6, v10, v12
	v_fmac_f32_e32 v13, v15, v11
	v_fma_f32 v7, -v7, v13, v9
	s_mov_b64 vcc, s[0:1]
	v_div_fmas_f32 v7, v7, v11, v13
	s_load_dwordx2 s[0:1], s[4:5], 0x20
	s_lshr_b32 s28, s2, 16
	s_mul_i32 s26, s7, s28
	v_cvt_f32_i32_e32 v9, s26
	s_and_b32 s29, s2, 0xffff
	s_waitcnt lgkmcnt(0)
	s_mul_i32 s1, s1, s8
	s_mul_hi_u32 s2, s0, s8
	s_mul_i32 s27, s6, s29
	s_add_i32 s7, s2, s1
	s_add_i32 s1, s26, s28
	;; [unrolled: 1-line block ×3, first 2 shown]
	v_div_fixup_f32 v8, v6, v3, v2
	v_mul_f32_e32 v2, v8, v9
	v_cvt_f32_i32_e32 v10, s1
	v_floor_f32_e32 v2, v2
	v_div_fixup_f32 v6, v7, v5, v4
	v_cvt_i32_f32_e32 v4, v2
	v_cvt_f32_i32_e32 v2, s27
	v_cvt_f32_i32_e32 v5, s2
	v_mul_f32_e32 v3, v8, v10
	v_ceil_f32_e32 v3, v3
	v_mul_f32_e32 v2, v6, v2
	v_mul_f32_e32 v5, v6, v5
	v_cvt_i32_f32_e32 v3, v3
	v_floor_f32_e32 v2, v2
	v_ceil_f32_e32 v5, v5
	v_cvt_i32_f32_e32 v2, v2
	v_cvt_i32_f32_e32 v5, v5
	v_sub_u32_e32 v9, v3, v4
	s_mul_i32 s6, s0, s8
	v_readfirstlane_b32 s8, v2
	v_sub_u32_e32 v7, v5, v2
	v_cmp_lt_i32_e32 vcc, v1, v9
	s_and_saveexec_b64 s[10:11], vcc
	s_cbranch_execz .LBB1_8
; %bb.1:
	v_mul_lo_u32 v2, v1, v7
	s_ashr_i32 s9, s8, 31
	s_lshl_b64 s[0:1], s[6:7], 2
	v_mul_lo_u32 v3, v7, s28
	s_add_u32 s2, s12, s0
	s_addc_u32 s3, s13, s1
	s_lshl_b64 s[0:1], s[8:9], 2
	s_add_u32 s9, s2, s0
	v_lshlrev_b32_e32 v2, 2, v2
	v_lshlrev_b32_e32 v10, 2, v0
	v_cmp_lt_i32_e32 vcc, v0, v7
	s_addc_u32 s30, s3, s1
	v_add3_u32 v10, v2, v10, 0
	v_lshlrev_b32_e32 v11, 2, v3
	s_lshl_b32 s31, s29, 2
	s_mov_b64 s[12:13], 0
	v_mov_b32_e32 v12, v1
	s_branch .LBB1_3
.LBB1_2:                                ;   in Loop: Header=BB1_3 Depth=1
	s_or_b64 exec, exec, s[20:21]
	v_add_u32_e32 v12, s28, v12
	v_cmp_ge_i32_e64 s[0:1], v12, v9
	s_or_b64 s[12:13], s[0:1], s[12:13]
	v_add_u32_e32 v10, v10, v11
	s_andn2_b64 exec, exec, s[12:13]
	s_cbranch_execz .LBB1_8
.LBB1_3:                                ; =>This Loop Header: Depth=1
                                        ;     Child Loop BB1_6 Depth 2
	s_and_saveexec_b64 s[20:21], vcc
	s_cbranch_execz .LBB1_2
; %bb.4:                                ;   in Loop: Header=BB1_3 Depth=1
	v_add_u32_e32 v3, v12, v4
	v_mul_lo_u32 v2, v3, s17
	v_cmp_gt_i32_e64 s[0:1], s16, v3
	v_mov_b32_e32 v14, s30
	s_mov_b64 s[22:23], 0
	v_ashrrev_i32_e32 v3, 31, v2
	v_lshlrev_b64 v[2:3], 2, v[2:3]
	v_mov_b32_e32 v15, v10
	v_add_co_u32_e64 v13, s[2:3], s9, v2
	v_addc_co_u32_e64 v14, s[2:3], v14, v3, s[2:3]
	v_mov_b32_e32 v2, v0
	s_branch .LBB1_6
.LBB1_5:                                ;   in Loop: Header=BB1_6 Depth=2
	s_or_b64 exec, exec, s[24:25]
	v_add_u32_e32 v2, s29, v2
	v_cmp_ge_i32_e64 s[2:3], v2, v7
	s_waitcnt vmcnt(0)
	ds_write_b32 v15, v3
	s_or_b64 s[22:23], s[2:3], s[22:23]
	v_add_u32_e32 v15, s31, v15
	s_andn2_b64 exec, exec, s[22:23]
	s_cbranch_execz .LBB1_2
.LBB1_6:                                ;   Parent Loop BB1_3 Depth=1
                                        ; =>  This Inner Loop Header: Depth=2
	v_add_u32_e32 v3, s8, v2
	v_cmp_gt_i32_e64 s[2:3], s17, v3
	s_and_b64 s[2:3], s[0:1], s[2:3]
	v_mov_b32_e32 v3, 0
	s_and_saveexec_b64 s[24:25], s[2:3]
	s_cbranch_execz .LBB1_5
; %bb.7:                                ;   in Loop: Header=BB1_6 Depth=2
	v_ashrrev_i32_e32 v3, 31, v2
	v_lshlrev_b64 v[16:17], 2, v[2:3]
	v_add_co_u32_e64 v16, s[2:3], v13, v16
	v_addc_co_u32_e64 v17, s[2:3], v14, v17, s[2:3]
	global_load_dword v3, v[16:17], off
	s_branch .LBB1_5
.LBB1_8:
	s_or_b64 exec, exec, s[10:11]
	v_add_u32_e32 v1, s26, v1
	v_add_u32_e32 v0, s27, v0
	v_cmp_gt_i32_e32 vcc, s18, v1
	v_cmp_gt_i32_e64 s[0:1], s19, v0
	s_and_b64 s[0:1], vcc, s[0:1]
	s_waitcnt lgkmcnt(0)
	s_barrier
	s_and_saveexec_b64 s[2:3], s[0:1]
	s_cbranch_execz .LBB1_18
; %bb.9:
	v_cvt_f32_i32_e32 v2, v1
	v_add_u32_e32 v3, 1, v1
	v_cvt_f32_i32_e32 v3, v3
	v_add_u32_e32 v9, 1, v0
	v_mul_f32_e32 v2, v8, v2
	v_floor_f32_e32 v2, v2
	v_mul_f32_e32 v3, v8, v3
	v_cvt_i32_f32_e32 v8, v2
	v_ceil_f32_e32 v2, v3
	v_cvt_f32_i32_e32 v3, v0
	v_cvt_f32_i32_e32 v10, v9
	v_cvt_i32_f32_e32 v2, v2
	s_mov_b32 s16, 0
	v_mul_f32_e32 v3, v6, v3
	v_floor_f32_e32 v3, v3
	v_cvt_i32_f32_e32 v9, v3
	v_mul_f32_e32 v3, v6, v10
	v_ceil_f32_e32 v3, v3
	v_cvt_i32_f32_e32 v6, v3
	v_sub_u32_e32 v3, v2, v8
	v_cmp_lt_i32_e32 vcc, 0, v3
	v_mov_b32_e32 v2, 0
	v_sub_u32_e32 v6, v6, v9
	s_and_saveexec_b64 s[2:3], vcc
	s_cbranch_execz .LBB1_17
; %bb.10:
	v_sub_u32_e32 v2, v8, v4
	v_mul_lo_u32 v2, v2, v7
	v_lshlrev_b32_e32 v4, 2, v9
	s_lshl_b32 s0, s8, 2
	v_cmp_lt_i32_e32 vcc, 0, v6
	v_lshl_add_u32 v2, v2, 2, v4
	v_subrev_u32_e32 v2, s0, v2
	v_add_u32_e32 v4, 0, v2
	v_lshlrev_b32_e32 v2, 2, v5
	v_subrev_u32_e32 v5, s0, v2
	v_mov_b32_e32 v2, 0
	s_mov_b64 s[8:9], 0
	s_branch .LBB1_12
.LBB1_11:                               ;   in Loop: Header=BB1_12 Depth=1
	s_or_b64 exec, exec, s[10:11]
	s_add_i32 s16, s16, 1
	v_cmp_ge_i32_e64 s[0:1], s16, v3
	s_or_b64 s[8:9], s[0:1], s[8:9]
	v_add_u32_e32 v4, v4, v5
	s_andn2_b64 exec, exec, s[8:9]
	s_cbranch_execz .LBB1_16
.LBB1_12:                               ; =>This Loop Header: Depth=1
                                        ;     Child Loop BB1_14 Depth 2
	s_and_saveexec_b64 s[10:11], vcc
	s_cbranch_execz .LBB1_11
; %bb.13:                               ;   in Loop: Header=BB1_12 Depth=1
	s_mov_b32 s18, 0
	s_mov_b64 s[12:13], 0
	v_mov_b32_e32 v7, v4
.LBB1_14:                               ;   Parent Loop BB1_12 Depth=1
                                        ; =>  This Inner Loop Header: Depth=2
	ds_read_b32 v8, v7
	s_add_i32 s18, s18, 1
	v_cmp_ge_i32_e64 s[0:1], s18, v6
	v_add_u32_e32 v7, 4, v7
	s_or_b64 s[12:13], s[0:1], s[12:13]
	s_waitcnt lgkmcnt(0)
	v_add_f32_e32 v2, v2, v8
	s_andn2_b64 exec, exec, s[12:13]
	s_cbranch_execnz .LBB1_14
; %bb.15:                               ;   in Loop: Header=BB1_12 Depth=1
	s_or_b64 exec, exec, s[12:13]
	s_branch .LBB1_11
.LBB1_16:
	s_or_b64 exec, exec, s[8:9]
.LBB1_17:
	s_or_b64 exec, exec, s[2:3]
	v_mul_lo_u32 v3, v6, v3
	s_load_dword s2, s[4:5], 0x28
	s_load_dword s3, s[4:5], 0x30
	v_cvt_f32_i32_e32 v5, v3
	s_waitcnt lgkmcnt(0)
	v_add_u32_e32 v1, s2, v1
	v_add_u32_e32 v0, s3, v0
	v_div_scale_f32 v3, s[0:1], v5, v5, v2
	v_div_scale_f32 v4, vcc, v2, v5, v2
	s_lshl_b64 s[0:1], s[6:7], 2
	s_add_u32 s0, s14, s0
	s_addc_u32 s1, s15, s1
	v_rcp_f32_e32 v6, v3
	v_fma_f32 v7, -v3, v6, 1.0
	v_fmac_f32_e32 v6, v7, v6
	v_mul_f32_e32 v7, v4, v6
	v_fma_f32 v8, -v3, v7, v4
	v_fmac_f32_e32 v7, v8, v6
	v_fma_f32 v3, -v3, v7, v4
	v_div_fmas_f32 v6, v3, v6, v7
	v_mul_lo_u32 v3, v1, s17
	v_ashrrev_i32_e32 v1, 31, v0
	v_mov_b32_e32 v7, s1
	v_lshlrev_b64 v[0:1], 2, v[0:1]
	v_ashrrev_i32_e32 v4, 31, v3
	v_lshlrev_b64 v[3:4], 2, v[3:4]
	v_add_co_u32_e32 v3, vcc, s0, v3
	v_addc_co_u32_e32 v4, vcc, v7, v4, vcc
	v_add_co_u32_e32 v0, vcc, v3, v0
	v_addc_co_u32_e32 v1, vcc, v4, v1, vcc
	v_div_fixup_f32 v2, v6, v5, v2
	global_store_dword v[0:1], v2, off
.LBB1_18:
	s_endpgm
	.section	.rodata,"a",@progbits
	.p2align	6, 0x0
	.amdhsa_kernel _Z15zoom_out_kernelPKfPfiiiimiiii
		.amdhsa_group_segment_fixed_size 0
		.amdhsa_private_segment_fixed_size 0
		.amdhsa_kernarg_size 312
		.amdhsa_user_sgpr_count 6
		.amdhsa_user_sgpr_private_segment_buffer 1
		.amdhsa_user_sgpr_dispatch_ptr 0
		.amdhsa_user_sgpr_queue_ptr 0
		.amdhsa_user_sgpr_kernarg_segment_ptr 1
		.amdhsa_user_sgpr_dispatch_id 0
		.amdhsa_user_sgpr_flat_scratch_init 0
		.amdhsa_user_sgpr_private_segment_size 0
		.amdhsa_uses_dynamic_stack 0
		.amdhsa_system_sgpr_private_segment_wavefront_offset 0
		.amdhsa_system_sgpr_workgroup_id_x 1
		.amdhsa_system_sgpr_workgroup_id_y 1
		.amdhsa_system_sgpr_workgroup_id_z 1
		.amdhsa_system_sgpr_workgroup_info 0
		.amdhsa_system_vgpr_workitem_id 1
		.amdhsa_next_free_vgpr 18
		.amdhsa_next_free_sgpr 32
		.amdhsa_reserve_vcc 1
		.amdhsa_reserve_flat_scratch 0
		.amdhsa_float_round_mode_32 0
		.amdhsa_float_round_mode_16_64 0
		.amdhsa_float_denorm_mode_32 3
		.amdhsa_float_denorm_mode_16_64 3
		.amdhsa_dx10_clamp 1
		.amdhsa_ieee_mode 1
		.amdhsa_fp16_overflow 0
		.amdhsa_exception_fp_ieee_invalid_op 0
		.amdhsa_exception_fp_denorm_src 0
		.amdhsa_exception_fp_ieee_div_zero 0
		.amdhsa_exception_fp_ieee_overflow 0
		.amdhsa_exception_fp_ieee_underflow 0
		.amdhsa_exception_fp_ieee_inexact 0
		.amdhsa_exception_int_div_zero 0
	.end_amdhsa_kernel
	.text
.Lfunc_end1:
	.size	_Z15zoom_out_kernelPKfPfiiiimiiii, .Lfunc_end1-_Z15zoom_out_kernelPKfPfiiiimiiii
                                        ; -- End function
	.set _Z15zoom_out_kernelPKfPfiiiimiiii.num_vgpr, 18
	.set _Z15zoom_out_kernelPKfPfiiiimiiii.num_agpr, 0
	.set _Z15zoom_out_kernelPKfPfiiiimiiii.numbered_sgpr, 32
	.set _Z15zoom_out_kernelPKfPfiiiimiiii.num_named_barrier, 0
	.set _Z15zoom_out_kernelPKfPfiiiimiiii.private_seg_size, 0
	.set _Z15zoom_out_kernelPKfPfiiiimiiii.uses_vcc, 1
	.set _Z15zoom_out_kernelPKfPfiiiimiiii.uses_flat_scratch, 0
	.set _Z15zoom_out_kernelPKfPfiiiimiiii.has_dyn_sized_stack, 0
	.set _Z15zoom_out_kernelPKfPfiiiimiiii.has_recursion, 0
	.set _Z15zoom_out_kernelPKfPfiiiimiiii.has_indirect_call, 0
	.section	.AMDGPU.csdata,"",@progbits
; Kernel info:
; codeLenInByte = 1136
; TotalNumSgprs: 36
; NumVgprs: 18
; ScratchSize: 0
; MemoryBound: 0
; FloatMode: 240
; IeeeMode: 1
; LDSByteSize: 0 bytes/workgroup (compile time only)
; SGPRBlocks: 4
; VGPRBlocks: 4
; NumSGPRsForWavesPerEU: 36
; NumVGPRsForWavesPerEU: 18
; Occupancy: 10
; WaveLimiterHint : 0
; COMPUTE_PGM_RSRC2:SCRATCH_EN: 0
; COMPUTE_PGM_RSRC2:USER_SGPR: 6
; COMPUTE_PGM_RSRC2:TRAP_HANDLER: 0
; COMPUTE_PGM_RSRC2:TGID_X_EN: 1
; COMPUTE_PGM_RSRC2:TGID_Y_EN: 1
; COMPUTE_PGM_RSRC2:TGID_Z_EN: 1
; COMPUTE_PGM_RSRC2:TIDIG_COMP_CNT: 1
	.text
	.protected	_Z17zoom_out_edge_padPfiimiiii ; -- Begin function _Z17zoom_out_edge_padPfiimiiii
	.globl	_Z17zoom_out_edge_padPfiimiiii
	.p2align	8
	.type	_Z17zoom_out_edge_padPfiimiiii,@function
_Z17zoom_out_edge_padPfiimiiii:         ; @_Z17zoom_out_edge_padPfiimiiii
; %bb.0:
	s_load_dword s0, s[4:5], 0x34
	s_load_dwordx2 s[16:17], s[4:5], 0x8
	s_waitcnt lgkmcnt(0)
	s_lshr_b32 s1, s0, 16
	s_and_b32 s0, s0, 0xffff
	s_mul_i32 s7, s7, s1
	s_mul_i32 s6, s6, s0
	v_add_u32_e32 v6, s7, v1
	v_add_u32_e32 v0, s6, v0
	v_cmp_gt_i32_e32 vcc, s16, v6
	v_cmp_gt_i32_e64 s[0:1], s17, v0
	s_and_b64 s[0:1], vcc, s[0:1]
	s_and_saveexec_b64 s[2:3], s[0:1]
	s_cbranch_execz .LBB2_5
; %bb.1:
	s_load_dwordx2 s[0:1], s[4:5], 0x10
	s_load_dwordx2 s[10:11], s[4:5], 0x0
	s_load_dwordx4 s[12:15], s[4:5], 0x18
	v_mul_lo_u32 v1, v6, s17
	s_waitcnt lgkmcnt(0)
	s_mul_i32 s1, s1, s8
	s_mul_hi_u32 s2, s0, s8
	s_add_i32 s9, s2, s1
	s_mul_i32 s8, s0, s8
	v_ashrrev_i32_e32 v3, 31, v1
	v_mov_b32_e32 v4, s9
	v_add_co_u32_e32 v2, vcc, s8, v1
	v_addc_co_u32_e32 v3, vcc, v4, v3, vcc
	v_cmp_gt_i32_e64 s[4:5], s12, v6
	v_cmp_gt_i32_e32 vcc, s15, v0
	v_cmp_le_i32_e64 s[2:3], s13, v0
	s_and_b64 s[0:1], s[4:5], vcc
	s_and_b64 s[0:1], s[0:1], s[2:3]
	v_ashrrev_i32_e32 v1, 31, v0
	v_cmp_gt_i32_e64 s[6:7], s13, v0
	s_xor_b64 s[18:19], s[0:1], -1
	s_mov_b64 s[0:1], 0
                                        ; implicit-def: $vgpr4_vgpr5
	s_and_saveexec_b64 s[20:21], s[18:19]
	s_xor_b64 s[18:19], exec, s[20:21]
	s_cbranch_execnz .LBB2_6
; %bb.2:
	s_andn2_saveexec_b64 s[2:3], s[18:19]
	s_cbranch_execnz .LBB2_33
.LBB2_3:
	s_or_b64 exec, exec, s[2:3]
	s_and_b64 exec, exec, s[0:1]
	s_cbranch_execz .LBB2_5
.LBB2_4:
	global_load_dword v3, v[4:5], off
	v_add_u32_e32 v0, v0, v2
	v_ashrrev_i32_e32 v1, 31, v0
	v_lshlrev_b64 v[0:1], 2, v[0:1]
	v_mov_b32_e32 v2, s11
	v_add_co_u32_e32 v0, vcc, s10, v0
	v_addc_co_u32_e32 v1, vcc, v2, v1, vcc
	s_waitcnt vmcnt(0)
	global_store_dword v[0:1], v3, off
.LBB2_5:
	s_endpgm
.LBB2_6:
	v_cmp_gt_i32_e64 s[0:1], s14, v6
	s_nor_b64 s[20:21], s[0:1], s[6:7]
	s_and_b64 s[20:21], vcc, s[20:21]
	s_xor_b64 s[20:21], s[20:21], -1
	s_mov_b64 s[22:23], 0
                                        ; implicit-def: $vgpr4_vgpr5
	s_and_saveexec_b64 s[24:25], s[20:21]
	s_xor_b64 s[20:21], exec, s[24:25]
	s_cbranch_execz .LBB2_30
; %bb.7:
	s_xor_b64 s[26:27], s[4:5], -1
	s_and_b64 s[6:7], s[6:7], s[26:27]
	s_and_b64 s[6:7], s[0:1], s[6:7]
	s_xor_b64 s[6:7], s[6:7], -1
                                        ; implicit-def: $vgpr4_vgpr5
	s_and_saveexec_b64 s[24:25], s[6:7]
	s_xor_b64 s[6:7], exec, s[24:25]
	s_cbranch_execz .LBB2_27
; %bb.8:
	s_nor_b64 s[4:5], s[4:5], vcc
	s_and_b64 s[4:5], s[0:1], s[4:5]
	s_xor_b64 s[4:5], s[4:5], -1
                                        ; implicit-def: $vgpr4_vgpr5
	s_and_saveexec_b64 s[24:25], s[4:5]
	s_xor_b64 s[4:5], exec, s[24:25]
	s_cbranch_execz .LBB2_24
; %bb.9:
	s_nor_b64 s[24:25], s[26:27], s[2:3]
                                        ; implicit-def: $sgpr28_sgpr29
	s_and_saveexec_b64 s[30:31], s[24:25]
	s_xor_b64 s[24:25], exec, s[30:31]
	s_cbranch_execz .LBB2_11
; %bb.10:
	s_mul_i32 s28, s12, s17
	s_ashr_i32 s29, s28, 31
	s_ashr_i32 s31, s13, 31
	s_lshl_b64 s[34:35], s[8:9], 2
	s_add_u32 s16, s10, s34
	s_addc_u32 s33, s11, s35
	s_lshl_b64 s[28:29], s[28:29], 2
	s_mov_b32 s30, s13
	s_add_u32 s16, s16, s28
	s_addc_u32 s33, s33, s29
	s_lshl_b64 s[28:29], s[30:31], 2
	s_add_u32 s28, s16, s28
	s_mov_b64 s[22:23], exec
	s_addc_u32 s29, s33, s29
.LBB2_11:
	s_or_saveexec_b64 s[24:25], s[24:25]
	v_mov_b32_e32 v4, s28
	v_mov_b32_e32 v5, s29
	s_xor_b64 exec, exec, s[24:25]
	s_cbranch_execz .LBB2_23
; %bb.12:
	s_nor_b64 s[28:29], vcc, s[26:27]
	s_mov_b64 s[26:27], s[22:23]
                                        ; implicit-def: $sgpr30_sgpr31
	s_and_saveexec_b64 s[34:35], s[28:29]
	s_xor_b64 s[28:29], exec, s[34:35]
	s_cbranch_execz .LBB2_14
; %bb.13:
	s_mul_i32 s26, s12, s17
	s_ashr_i32 s27, s26, 31
	s_lshl_b64 s[30:31], s[8:9], 2
	s_add_u32 s16, s10, s30
	s_addc_u32 s30, s11, s31
	s_lshl_b64 s[26:27], s[26:27], 2
	s_add_u32 s16, s16, s26
	s_addc_u32 s30, s30, s27
	s_ashr_i32 s27, s15, 31
	s_mov_b32 s26, s15
	s_lshl_b64 s[26:27], s[26:27], 2
	s_add_u32 s16, s16, s26
	s_addc_u32 s26, s30, s27
	s_add_u32 s30, s16, -4
	s_addc_u32 s31, s26, -1
	s_or_b64 s[26:27], s[22:23], exec
.LBB2_14:
	s_or_saveexec_b64 s[28:29], s[28:29]
	v_mov_b32_e32 v4, s30
	v_mov_b32_e32 v5, s31
	s_xor_b64 exec, exec, s[28:29]
	s_cbranch_execz .LBB2_22
; %bb.15:
	s_nor_b64 s[30:31], s[0:1], s[2:3]
	s_mov_b64 s[2:3], s[26:27]
                                        ; implicit-def: $sgpr34_sgpr35
	s_and_saveexec_b64 s[36:37], s[30:31]
	s_xor_b64 s[30:31], exec, s[36:37]
	s_cbranch_execz .LBB2_17
; %bb.16:
	s_add_i32 s2, s14, -1
	s_mul_i32 s2, s2, s17
	s_ashr_i32 s3, s2, 31
	s_ashr_i32 s35, s13, 31
	s_lshl_b64 s[36:37], s[8:9], 2
	s_add_u32 s16, s10, s36
	s_addc_u32 s33, s11, s37
	s_lshl_b64 s[2:3], s[2:3], 2
	s_mov_b32 s34, s13
	s_add_u32 s16, s16, s2
	s_addc_u32 s33, s33, s3
	s_lshl_b64 s[2:3], s[34:35], 2
	s_add_u32 s34, s16, s2
	s_addc_u32 s35, s33, s3
	s_or_b64 s[2:3], s[26:27], exec
.LBB2_17:
	s_or_saveexec_b64 s[30:31], s[30:31]
	v_mov_b32_e32 v4, s34
	v_mov_b32_e32 v5, s35
	s_xor_b64 exec, exec, s[30:31]
	s_cbranch_execz .LBB2_21
; %bb.18:
	s_nor_b64 s[0:1], s[0:1], vcc
	s_mov_b64 s[36:37], s[2:3]
                                        ; implicit-def: $sgpr34_sgpr35
	s_and_saveexec_b64 s[38:39], s[0:1]
	s_xor_b64 s[0:1], exec, s[38:39]
	s_cbranch_execz .LBB2_20
; %bb.19:
	s_add_i32 s16, s14, -1
	s_mul_i32 s34, s16, s17
	s_ashr_i32 s35, s34, 31
	s_lshl_b64 s[36:37], s[8:9], 2
	s_add_u32 s16, s10, s36
	s_addc_u32 s33, s11, s37
	s_lshl_b64 s[34:35], s[34:35], 2
	s_add_u32 s16, s16, s34
	s_addc_u32 s33, s33, s35
	s_ashr_i32 s35, s15, 31
	s_mov_b32 s34, s15
	s_lshl_b64 s[34:35], s[34:35], 2
	s_add_u32 s16, s16, s34
	s_addc_u32 s33, s33, s35
	s_add_u32 s34, s16, -4
	s_addc_u32 s35, s33, -1
	s_or_b64 s[36:37], s[2:3], exec
.LBB2_20:
	s_or_b64 exec, exec, s[0:1]
	v_mov_b32_e32 v4, s34
	s_andn2_b64 s[0:1], s[2:3], exec
	s_and_b64 s[2:3], s[36:37], exec
	v_mov_b32_e32 v5, s35
	s_or_b64 s[2:3], s[0:1], s[2:3]
.LBB2_21:
	s_or_b64 exec, exec, s[30:31]
	s_andn2_b64 s[0:1], s[26:27], exec
	s_and_b64 s[2:3], s[2:3], exec
	s_or_b64 s[26:27], s[0:1], s[2:3]
.LBB2_22:
	s_or_b64 exec, exec, s[28:29]
	s_andn2_b64 s[0:1], s[22:23], exec
	s_and_b64 s[2:3], s[26:27], exec
	s_or_b64 s[22:23], s[0:1], s[2:3]
.LBB2_23:
	s_or_b64 exec, exec, s[24:25]
	s_and_b64 s[22:23], s[22:23], exec
.LBB2_24:
	s_andn2_saveexec_b64 s[0:1], s[4:5]
	s_cbranch_execz .LBB2_26
; %bb.25:
	v_lshlrev_b64 v[3:4], 2, v[2:3]
	v_mov_b32_e32 v1, s11
	v_add_co_u32_e32 v3, vcc, s10, v3
	s_ashr_i32 s3, s15, 31
	s_mov_b32 s2, s15
	v_addc_co_u32_e32 v1, vcc, v1, v4, vcc
	s_lshl_b64 s[2:3], s[2:3], 2
	v_mov_b32_e32 v4, s3
	v_add_co_u32_e32 v3, vcc, s2, v3
	v_addc_co_u32_e32 v1, vcc, v1, v4, vcc
	v_add_co_u32_e32 v4, vcc, -4, v3
	v_addc_co_u32_e32 v5, vcc, -1, v1, vcc
	s_or_b64 s[22:23], s[22:23], exec
.LBB2_26:
	s_or_b64 exec, exec, s[0:1]
	s_and_b64 s[22:23], s[22:23], exec
.LBB2_27:
	s_andn2_saveexec_b64 s[0:1], s[6:7]
	s_cbranch_execz .LBB2_29
; %bb.28:
	v_lshlrev_b64 v[3:4], 2, v[2:3]
	s_ashr_i32 s3, s13, 31
	s_mov_b32 s2, s13
	v_mov_b32_e32 v1, s11
	v_add_co_u32_e32 v3, vcc, s10, v3
	v_addc_co_u32_e32 v1, vcc, v1, v4, vcc
	s_lshl_b64 s[2:3], s[2:3], 2
	v_mov_b32_e32 v5, s3
	v_add_co_u32_e32 v4, vcc, s2, v3
	v_addc_co_u32_e32 v5, vcc, v1, v5, vcc
	s_or_b64 s[22:23], s[22:23], exec
.LBB2_29:
	s_or_b64 exec, exec, s[0:1]
	s_and_b64 s[22:23], s[22:23], exec
.LBB2_30:
	s_andn2_saveexec_b64 s[0:1], s[20:21]
	s_cbranch_execz .LBB2_32
; %bb.31:
	s_add_i32 s2, s14, -1
	s_mul_i32 s2, s2, s17
	s_ashr_i32 s3, s2, 31
	s_lshl_b64 s[4:5], s[8:9], 2
	s_add_u32 s4, s10, s4
	s_addc_u32 s5, s11, s5
	s_lshl_b64 s[2:3], s[2:3], 2
	s_add_u32 s2, s4, s2
	v_lshlrev_b64 v[4:5], 2, v[0:1]
	s_addc_u32 s3, s5, s3
	v_mov_b32_e32 v1, s3
	v_add_co_u32_e32 v4, vcc, s2, v4
	v_addc_co_u32_e32 v5, vcc, v1, v5, vcc
	s_or_b64 s[22:23], s[22:23], exec
.LBB2_32:
	s_or_b64 exec, exec, s[0:1]
	s_and_b64 s[0:1], s[22:23], exec
	s_andn2_saveexec_b64 s[2:3], s[18:19]
	s_cbranch_execz .LBB2_3
.LBB2_33:
	s_mul_i32 s4, s12, s17
	s_ashr_i32 s5, s4, 31
	s_lshl_b64 s[6:7], s[8:9], 2
	s_add_u32 s6, s10, s6
	s_addc_u32 s7, s11, s7
	s_lshl_b64 s[4:5], s[4:5], 2
	s_add_u32 s4, s6, s4
	v_lshlrev_b64 v[4:5], 2, v[0:1]
	s_addc_u32 s5, s7, s5
	v_mov_b32_e32 v1, s5
	v_add_co_u32_e32 v4, vcc, s4, v4
	v_addc_co_u32_e32 v5, vcc, v1, v5, vcc
	s_or_b64 s[0:1], s[0:1], exec
	s_or_b64 exec, exec, s[2:3]
	s_and_b64 exec, exec, s[0:1]
	s_cbranch_execnz .LBB2_4
	s_branch .LBB2_5
	.section	.rodata,"a",@progbits
	.p2align	6, 0x0
	.amdhsa_kernel _Z17zoom_out_edge_padPfiimiiii
		.amdhsa_group_segment_fixed_size 0
		.amdhsa_private_segment_fixed_size 0
		.amdhsa_kernarg_size 296
		.amdhsa_user_sgpr_count 6
		.amdhsa_user_sgpr_private_segment_buffer 1
		.amdhsa_user_sgpr_dispatch_ptr 0
		.amdhsa_user_sgpr_queue_ptr 0
		.amdhsa_user_sgpr_kernarg_segment_ptr 1
		.amdhsa_user_sgpr_dispatch_id 0
		.amdhsa_user_sgpr_flat_scratch_init 0
		.amdhsa_user_sgpr_private_segment_size 0
		.amdhsa_uses_dynamic_stack 0
		.amdhsa_system_sgpr_private_segment_wavefront_offset 0
		.amdhsa_system_sgpr_workgroup_id_x 1
		.amdhsa_system_sgpr_workgroup_id_y 1
		.amdhsa_system_sgpr_workgroup_id_z 1
		.amdhsa_system_sgpr_workgroup_info 0
		.amdhsa_system_vgpr_workitem_id 1
		.amdhsa_next_free_vgpr 7
		.amdhsa_next_free_sgpr 40
		.amdhsa_reserve_vcc 1
		.amdhsa_reserve_flat_scratch 0
		.amdhsa_float_round_mode_32 0
		.amdhsa_float_round_mode_16_64 0
		.amdhsa_float_denorm_mode_32 3
		.amdhsa_float_denorm_mode_16_64 3
		.amdhsa_dx10_clamp 1
		.amdhsa_ieee_mode 1
		.amdhsa_fp16_overflow 0
		.amdhsa_exception_fp_ieee_invalid_op 0
		.amdhsa_exception_fp_denorm_src 0
		.amdhsa_exception_fp_ieee_div_zero 0
		.amdhsa_exception_fp_ieee_overflow 0
		.amdhsa_exception_fp_ieee_underflow 0
		.amdhsa_exception_fp_ieee_inexact 0
		.amdhsa_exception_int_div_zero 0
	.end_amdhsa_kernel
	.text
.Lfunc_end2:
	.size	_Z17zoom_out_edge_padPfiimiiii, .Lfunc_end2-_Z17zoom_out_edge_padPfiimiiii
                                        ; -- End function
	.set _Z17zoom_out_edge_padPfiimiiii.num_vgpr, 7
	.set _Z17zoom_out_edge_padPfiimiiii.num_agpr, 0
	.set _Z17zoom_out_edge_padPfiimiiii.numbered_sgpr, 40
	.set _Z17zoom_out_edge_padPfiimiiii.num_named_barrier, 0
	.set _Z17zoom_out_edge_padPfiimiiii.private_seg_size, 0
	.set _Z17zoom_out_edge_padPfiimiiii.uses_vcc, 1
	.set _Z17zoom_out_edge_padPfiimiiii.uses_flat_scratch, 0
	.set _Z17zoom_out_edge_padPfiimiiii.has_dyn_sized_stack, 0
	.set _Z17zoom_out_edge_padPfiimiiii.has_recursion, 0
	.set _Z17zoom_out_edge_padPfiimiiii.has_indirect_call, 0
	.section	.AMDGPU.csdata,"",@progbits
; Kernel info:
; codeLenInByte = 1100
; TotalNumSgprs: 44
; NumVgprs: 7
; ScratchSize: 0
; MemoryBound: 0
; FloatMode: 240
; IeeeMode: 1
; LDSByteSize: 0 bytes/workgroup (compile time only)
; SGPRBlocks: 5
; VGPRBlocks: 1
; NumSGPRsForWavesPerEU: 44
; NumVGPRsForWavesPerEU: 7
; Occupancy: 10
; WaveLimiterHint : 0
; COMPUTE_PGM_RSRC2:SCRATCH_EN: 0
; COMPUTE_PGM_RSRC2:USER_SGPR: 6
; COMPUTE_PGM_RSRC2:TRAP_HANDLER: 0
; COMPUTE_PGM_RSRC2:TGID_X_EN: 1
; COMPUTE_PGM_RSRC2:TGID_Y_EN: 1
; COMPUTE_PGM_RSRC2:TGID_Z_EN: 1
; COMPUTE_PGM_RSRC2:TIDIG_COMP_CNT: 1
	.section	.AMDGPU.gpr_maximums,"",@progbits
	.set amdgpu.max_num_vgpr, 0
	.set amdgpu.max_num_agpr, 0
	.set amdgpu.max_num_sgpr, 0
	.section	.AMDGPU.csdata,"",@progbits
	.type	__hip_cuid_7fc137c200b3f0b0,@object ; @__hip_cuid_7fc137c200b3f0b0
	.section	.bss,"aw",@nobits
	.globl	__hip_cuid_7fc137c200b3f0b0
__hip_cuid_7fc137c200b3f0b0:
	.byte	0                               ; 0x0
	.size	__hip_cuid_7fc137c200b3f0b0, 1

	.ident	"AMD clang version 22.0.0git (https://github.com/RadeonOpenCompute/llvm-project roc-7.2.4 26084 f58b06dce1f9c15707c5f808fd002e18c2accf7e)"
	.section	".note.GNU-stack","",@progbits
	.addrsig
	.addrsig_sym __hip_cuid_7fc137c200b3f0b0
	.amdgpu_metadata
---
amdhsa.kernels:
  - .args:
      - .address_space:  global
        .offset:         0
        .size:           8
        .value_kind:     global_buffer
      - .address_space:  global
        .offset:         8
        .size:           8
        .value_kind:     global_buffer
      - .offset:         16
        .size:           4
        .value_kind:     by_value
      - .offset:         20
        .size:           4
        .value_kind:     by_value
      - .offset:         24
        .size:           4
        .value_kind:     by_value
      - .offset:         28
        .size:           4
        .value_kind:     by_value
      - .offset:         32
        .size:           8
        .value_kind:     by_value
      - .offset:         40
        .size:           4
        .value_kind:     by_value
      - .offset:         44
        .size:           4
        .value_kind:     by_value
      - .offset:         48
        .size:           4
        .value_kind:     by_value
      - .offset:         52
        .size:           4
        .value_kind:     by_value
      - .offset:         56
        .size:           4
        .value_kind:     hidden_block_count_x
      - .offset:         60
        .size:           4
        .value_kind:     hidden_block_count_y
      - .offset:         64
        .size:           4
        .value_kind:     hidden_block_count_z
      - .offset:         68
        .size:           2
        .value_kind:     hidden_group_size_x
      - .offset:         70
        .size:           2
        .value_kind:     hidden_group_size_y
      - .offset:         72
        .size:           2
        .value_kind:     hidden_group_size_z
      - .offset:         74
        .size:           2
        .value_kind:     hidden_remainder_x
      - .offset:         76
        .size:           2
        .value_kind:     hidden_remainder_y
      - .offset:         78
        .size:           2
        .value_kind:     hidden_remainder_z
      - .offset:         96
        .size:           8
        .value_kind:     hidden_global_offset_x
      - .offset:         104
        .size:           8
        .value_kind:     hidden_global_offset_y
      - .offset:         112
        .size:           8
        .value_kind:     hidden_global_offset_z
      - .offset:         120
        .size:           2
        .value_kind:     hidden_grid_dims
      - .offset:         176
        .size:           4
        .value_kind:     hidden_dynamic_lds_size
    .group_segment_fixed_size: 0
    .kernarg_segment_align: 8
    .kernarg_segment_size: 312
    .language:       OpenCL C
    .language_version:
      - 2
      - 0
    .max_flat_workgroup_size: 1024
    .name:           _Z14zoom_in_kernelPKfPfiiiimiiii
    .private_segment_fixed_size: 0
    .sgpr_count:     36
    .sgpr_spill_count: 0
    .symbol:         _Z14zoom_in_kernelPKfPfiiiimiiii.kd
    .uniform_work_group_size: 1
    .uses_dynamic_stack: false
    .vgpr_count:     18
    .vgpr_spill_count: 0
    .wavefront_size: 64
  - .args:
      - .address_space:  global
        .offset:         0
        .size:           8
        .value_kind:     global_buffer
      - .address_space:  global
        .offset:         8
        .size:           8
        .value_kind:     global_buffer
      - .offset:         16
        .size:           4
        .value_kind:     by_value
      - .offset:         20
        .size:           4
        .value_kind:     by_value
      - .offset:         24
        .size:           4
        .value_kind:     by_value
      - .offset:         28
        .size:           4
        .value_kind:     by_value
      - .offset:         32
        .size:           8
        .value_kind:     by_value
      - .offset:         40
        .size:           4
        .value_kind:     by_value
      - .offset:         44
        .size:           4
        .value_kind:     by_value
      - .offset:         48
        .size:           4
        .value_kind:     by_value
      - .offset:         52
        .size:           4
        .value_kind:     by_value
      - .offset:         56
        .size:           4
        .value_kind:     hidden_block_count_x
      - .offset:         60
        .size:           4
        .value_kind:     hidden_block_count_y
      - .offset:         64
        .size:           4
        .value_kind:     hidden_block_count_z
      - .offset:         68
        .size:           2
        .value_kind:     hidden_group_size_x
      - .offset:         70
        .size:           2
        .value_kind:     hidden_group_size_y
      - .offset:         72
        .size:           2
        .value_kind:     hidden_group_size_z
      - .offset:         74
        .size:           2
        .value_kind:     hidden_remainder_x
      - .offset:         76
        .size:           2
        .value_kind:     hidden_remainder_y
      - .offset:         78
        .size:           2
        .value_kind:     hidden_remainder_z
      - .offset:         96
        .size:           8
        .value_kind:     hidden_global_offset_x
      - .offset:         104
        .size:           8
        .value_kind:     hidden_global_offset_y
      - .offset:         112
        .size:           8
        .value_kind:     hidden_global_offset_z
      - .offset:         120
        .size:           2
        .value_kind:     hidden_grid_dims
      - .offset:         176
        .size:           4
        .value_kind:     hidden_dynamic_lds_size
    .group_segment_fixed_size: 0
    .kernarg_segment_align: 8
    .kernarg_segment_size: 312
    .language:       OpenCL C
    .language_version:
      - 2
      - 0
    .max_flat_workgroup_size: 1024
    .name:           _Z15zoom_out_kernelPKfPfiiiimiiii
    .private_segment_fixed_size: 0
    .sgpr_count:     36
    .sgpr_spill_count: 0
    .symbol:         _Z15zoom_out_kernelPKfPfiiiimiiii.kd
    .uniform_work_group_size: 1
    .uses_dynamic_stack: false
    .vgpr_count:     18
    .vgpr_spill_count: 0
    .wavefront_size: 64
  - .args:
      - .address_space:  global
        .offset:         0
        .size:           8
        .value_kind:     global_buffer
      - .offset:         8
        .size:           4
        .value_kind:     by_value
      - .offset:         12
        .size:           4
        .value_kind:     by_value
      - .offset:         16
        .size:           8
        .value_kind:     by_value
      - .offset:         24
        .size:           4
        .value_kind:     by_value
      - .offset:         28
        .size:           4
        .value_kind:     by_value
      - .offset:         32
        .size:           4
        .value_kind:     by_value
      - .offset:         36
        .size:           4
        .value_kind:     by_value
      - .offset:         40
        .size:           4
        .value_kind:     hidden_block_count_x
      - .offset:         44
        .size:           4
        .value_kind:     hidden_block_count_y
      - .offset:         48
        .size:           4
        .value_kind:     hidden_block_count_z
      - .offset:         52
        .size:           2
        .value_kind:     hidden_group_size_x
      - .offset:         54
        .size:           2
        .value_kind:     hidden_group_size_y
      - .offset:         56
        .size:           2
        .value_kind:     hidden_group_size_z
      - .offset:         58
        .size:           2
        .value_kind:     hidden_remainder_x
      - .offset:         60
        .size:           2
        .value_kind:     hidden_remainder_y
      - .offset:         62
        .size:           2
        .value_kind:     hidden_remainder_z
      - .offset:         80
        .size:           8
        .value_kind:     hidden_global_offset_x
      - .offset:         88
        .size:           8
        .value_kind:     hidden_global_offset_y
      - .offset:         96
        .size:           8
        .value_kind:     hidden_global_offset_z
      - .offset:         104
        .size:           2
        .value_kind:     hidden_grid_dims
    .group_segment_fixed_size: 0
    .kernarg_segment_align: 8
    .kernarg_segment_size: 296
    .language:       OpenCL C
    .language_version:
      - 2
      - 0
    .max_flat_workgroup_size: 1024
    .name:           _Z17zoom_out_edge_padPfiimiiii
    .private_segment_fixed_size: 0
    .sgpr_count:     44
    .sgpr_spill_count: 0
    .symbol:         _Z17zoom_out_edge_padPfiimiiii.kd
    .uniform_work_group_size: 1
    .uses_dynamic_stack: false
    .vgpr_count:     7
    .vgpr_spill_count: 0
    .wavefront_size: 64
amdhsa.target:   amdgcn-amd-amdhsa--gfx906
amdhsa.version:
  - 1
  - 2
...

	.end_amdgpu_metadata
